;; amdgpu-corpus repo=ROCm/rocFFT kind=compiled arch=gfx906 opt=O3
	.text
	.amdgcn_target "amdgcn-amd-amdhsa--gfx906"
	.amdhsa_code_object_version 6
	.protected	fft_rtc_back_len1617_factors_3_7_7_11_wgs_231_tpt_231_sp_op_CI_CI_unitstride_sbrr_dirReg ; -- Begin function fft_rtc_back_len1617_factors_3_7_7_11_wgs_231_tpt_231_sp_op_CI_CI_unitstride_sbrr_dirReg
	.globl	fft_rtc_back_len1617_factors_3_7_7_11_wgs_231_tpt_231_sp_op_CI_CI_unitstride_sbrr_dirReg
	.p2align	8
	.type	fft_rtc_back_len1617_factors_3_7_7_11_wgs_231_tpt_231_sp_op_CI_CI_unitstride_sbrr_dirReg,@function
fft_rtc_back_len1617_factors_3_7_7_11_wgs_231_tpt_231_sp_op_CI_CI_unitstride_sbrr_dirReg: ; @fft_rtc_back_len1617_factors_3_7_7_11_wgs_231_tpt_231_sp_op_CI_CI_unitstride_sbrr_dirReg
; %bb.0:
	s_load_dwordx4 s[8:11], s[4:5], 0x58
	s_load_dwordx4 s[12:15], s[4:5], 0x0
	;; [unrolled: 1-line block ×3, first 2 shown]
	v_mul_u32_u24_e32 v1, 0x11c, v0
	v_add_u32_sdwa v5, s6, v1 dst_sel:DWORD dst_unused:UNUSED_PAD src0_sel:DWORD src1_sel:WORD_1
	v_mov_b32_e32 v3, 0
	s_waitcnt lgkmcnt(0)
	v_cmp_lt_u64_e64 s[0:1], s[14:15], 2
	v_mov_b32_e32 v1, 0
	v_mov_b32_e32 v6, v3
	s_and_b64 vcc, exec, s[0:1]
	v_mov_b32_e32 v2, 0
	s_cbranch_vccnz .LBB0_8
; %bb.1:
	s_load_dwordx2 s[0:1], s[4:5], 0x10
	s_add_u32 s2, s18, 8
	s_addc_u32 s3, s19, 0
	s_add_u32 s6, s16, 8
	v_mov_b32_e32 v1, 0
	s_addc_u32 s7, s17, 0
	v_mov_b32_e32 v2, 0
	s_waitcnt lgkmcnt(0)
	s_add_u32 s20, s0, 8
	v_mov_b32_e32 v21, v2
	s_addc_u32 s21, s1, 0
	s_mov_b64 s[22:23], 1
	v_mov_b32_e32 v20, v1
.LBB0_2:                                ; =>This Inner Loop Header: Depth=1
	s_load_dwordx2 s[24:25], s[20:21], 0x0
                                        ; implicit-def: $vgpr23_vgpr24
	s_waitcnt lgkmcnt(0)
	v_or_b32_e32 v4, s25, v6
	v_cmp_ne_u64_e32 vcc, 0, v[3:4]
	s_and_saveexec_b64 s[0:1], vcc
	s_xor_b64 s[26:27], exec, s[0:1]
	s_cbranch_execz .LBB0_4
; %bb.3:                                ;   in Loop: Header=BB0_2 Depth=1
	v_cvt_f32_u32_e32 v4, s24
	v_cvt_f32_u32_e32 v7, s25
	s_sub_u32 s0, 0, s24
	s_subb_u32 s1, 0, s25
	v_mac_f32_e32 v4, 0x4f800000, v7
	v_rcp_f32_e32 v4, v4
	v_mul_f32_e32 v4, 0x5f7ffffc, v4
	v_mul_f32_e32 v7, 0x2f800000, v4
	v_trunc_f32_e32 v7, v7
	v_mac_f32_e32 v4, 0xcf800000, v7
	v_cvt_u32_f32_e32 v7, v7
	v_cvt_u32_f32_e32 v4, v4
	v_mul_lo_u32 v8, s0, v7
	v_mul_hi_u32 v9, s0, v4
	v_mul_lo_u32 v11, s1, v4
	v_mul_lo_u32 v10, s0, v4
	v_add_u32_e32 v8, v9, v8
	v_add_u32_e32 v8, v8, v11
	v_mul_hi_u32 v9, v4, v10
	v_mul_lo_u32 v11, v4, v8
	v_mul_hi_u32 v13, v4, v8
	v_mul_hi_u32 v12, v7, v10
	v_mul_lo_u32 v10, v7, v10
	v_mul_hi_u32 v14, v7, v8
	v_add_co_u32_e32 v9, vcc, v9, v11
	v_addc_co_u32_e32 v11, vcc, 0, v13, vcc
	v_mul_lo_u32 v8, v7, v8
	v_add_co_u32_e32 v9, vcc, v9, v10
	v_addc_co_u32_e32 v9, vcc, v11, v12, vcc
	v_addc_co_u32_e32 v10, vcc, 0, v14, vcc
	v_add_co_u32_e32 v8, vcc, v9, v8
	v_addc_co_u32_e32 v9, vcc, 0, v10, vcc
	v_add_co_u32_e32 v4, vcc, v4, v8
	v_addc_co_u32_e32 v7, vcc, v7, v9, vcc
	v_mul_lo_u32 v8, s0, v7
	v_mul_hi_u32 v9, s0, v4
	v_mul_lo_u32 v10, s1, v4
	v_mul_lo_u32 v11, s0, v4
	v_add_u32_e32 v8, v9, v8
	v_add_u32_e32 v8, v8, v10
	v_mul_lo_u32 v12, v4, v8
	v_mul_hi_u32 v13, v4, v11
	v_mul_hi_u32 v14, v4, v8
	v_mul_hi_u32 v10, v7, v11
	v_mul_lo_u32 v11, v7, v11
	v_mul_hi_u32 v9, v7, v8
	v_add_co_u32_e32 v12, vcc, v13, v12
	v_addc_co_u32_e32 v13, vcc, 0, v14, vcc
	v_mul_lo_u32 v8, v7, v8
	v_add_co_u32_e32 v11, vcc, v12, v11
	v_addc_co_u32_e32 v10, vcc, v13, v10, vcc
	v_addc_co_u32_e32 v9, vcc, 0, v9, vcc
	v_add_co_u32_e32 v8, vcc, v10, v8
	v_addc_co_u32_e32 v9, vcc, 0, v9, vcc
	v_add_co_u32_e32 v4, vcc, v4, v8
	v_addc_co_u32_e32 v9, vcc, v7, v9, vcc
	v_mad_u64_u32 v[7:8], s[0:1], v5, v9, 0
	v_mul_hi_u32 v10, v5, v4
	v_add_co_u32_e32 v11, vcc, v10, v7
	v_addc_co_u32_e32 v12, vcc, 0, v8, vcc
	v_mad_u64_u32 v[7:8], s[0:1], v6, v4, 0
	v_mad_u64_u32 v[9:10], s[0:1], v6, v9, 0
	v_add_co_u32_e32 v4, vcc, v11, v7
	v_addc_co_u32_e32 v4, vcc, v12, v8, vcc
	v_addc_co_u32_e32 v7, vcc, 0, v10, vcc
	v_add_co_u32_e32 v4, vcc, v4, v9
	v_addc_co_u32_e32 v9, vcc, 0, v7, vcc
	v_mul_lo_u32 v10, s25, v4
	v_mul_lo_u32 v11, s24, v9
	v_mad_u64_u32 v[7:8], s[0:1], s24, v4, 0
	v_add3_u32 v8, v8, v11, v10
	v_sub_u32_e32 v10, v6, v8
	v_mov_b32_e32 v11, s25
	v_sub_co_u32_e32 v7, vcc, v5, v7
	v_subb_co_u32_e64 v10, s[0:1], v10, v11, vcc
	v_subrev_co_u32_e64 v11, s[0:1], s24, v7
	v_subbrev_co_u32_e64 v10, s[0:1], 0, v10, s[0:1]
	v_cmp_le_u32_e64 s[0:1], s25, v10
	v_cndmask_b32_e64 v12, 0, -1, s[0:1]
	v_cmp_le_u32_e64 s[0:1], s24, v11
	v_cndmask_b32_e64 v11, 0, -1, s[0:1]
	v_cmp_eq_u32_e64 s[0:1], s25, v10
	v_cndmask_b32_e64 v10, v12, v11, s[0:1]
	v_add_co_u32_e64 v11, s[0:1], 2, v4
	v_addc_co_u32_e64 v12, s[0:1], 0, v9, s[0:1]
	v_add_co_u32_e64 v13, s[0:1], 1, v4
	v_addc_co_u32_e64 v14, s[0:1], 0, v9, s[0:1]
	v_subb_co_u32_e32 v8, vcc, v6, v8, vcc
	v_cmp_ne_u32_e64 s[0:1], 0, v10
	v_cmp_le_u32_e32 vcc, s25, v8
	v_cndmask_b32_e64 v10, v14, v12, s[0:1]
	v_cndmask_b32_e64 v12, 0, -1, vcc
	v_cmp_le_u32_e32 vcc, s24, v7
	v_cndmask_b32_e64 v7, 0, -1, vcc
	v_cmp_eq_u32_e32 vcc, s25, v8
	v_cndmask_b32_e32 v7, v12, v7, vcc
	v_cmp_ne_u32_e32 vcc, 0, v7
	v_cndmask_b32_e64 v7, v13, v11, s[0:1]
	v_cndmask_b32_e32 v24, v9, v10, vcc
	v_cndmask_b32_e32 v23, v4, v7, vcc
.LBB0_4:                                ;   in Loop: Header=BB0_2 Depth=1
	s_andn2_saveexec_b64 s[0:1], s[26:27]
	s_cbranch_execz .LBB0_6
; %bb.5:                                ;   in Loop: Header=BB0_2 Depth=1
	v_cvt_f32_u32_e32 v4, s24
	s_sub_i32 s26, 0, s24
	v_mov_b32_e32 v24, v3
	v_rcp_iflag_f32_e32 v4, v4
	v_mul_f32_e32 v4, 0x4f7ffffe, v4
	v_cvt_u32_f32_e32 v4, v4
	v_mul_lo_u32 v7, s26, v4
	v_mul_hi_u32 v7, v4, v7
	v_add_u32_e32 v4, v4, v7
	v_mul_hi_u32 v4, v5, v4
	v_mul_lo_u32 v7, v4, s24
	v_add_u32_e32 v8, 1, v4
	v_sub_u32_e32 v7, v5, v7
	v_subrev_u32_e32 v9, s24, v7
	v_cmp_le_u32_e32 vcc, s24, v7
	v_cndmask_b32_e32 v7, v7, v9, vcc
	v_cndmask_b32_e32 v4, v4, v8, vcc
	v_add_u32_e32 v8, 1, v4
	v_cmp_le_u32_e32 vcc, s24, v7
	v_cndmask_b32_e32 v23, v4, v8, vcc
.LBB0_6:                                ;   in Loop: Header=BB0_2 Depth=1
	s_or_b64 exec, exec, s[0:1]
	v_mul_lo_u32 v4, v24, s24
	v_mul_lo_u32 v9, v23, s25
	v_mad_u64_u32 v[7:8], s[0:1], v23, s24, 0
	s_load_dwordx2 s[0:1], s[6:7], 0x0
	s_load_dwordx2 s[24:25], s[2:3], 0x0
	v_add3_u32 v4, v8, v9, v4
	v_sub_co_u32_e32 v5, vcc, v5, v7
	v_subb_co_u32_e32 v4, vcc, v6, v4, vcc
	s_waitcnt lgkmcnt(0)
	v_mul_lo_u32 v6, s0, v4
	v_mul_lo_u32 v7, s1, v5
	v_mad_u64_u32 v[1:2], s[0:1], s0, v5, v[1:2]
	v_mul_lo_u32 v4, s24, v4
	v_mul_lo_u32 v8, s25, v5
	v_mad_u64_u32 v[20:21], s[0:1], s24, v5, v[20:21]
	s_add_u32 s22, s22, 1
	s_addc_u32 s23, s23, 0
	s_add_u32 s2, s2, 8
	v_add3_u32 v21, v8, v21, v4
	s_addc_u32 s3, s3, 0
	v_mov_b32_e32 v4, s14
	s_add_u32 s6, s6, 8
	v_mov_b32_e32 v5, s15
	s_addc_u32 s7, s7, 0
	v_cmp_ge_u64_e32 vcc, s[22:23], v[4:5]
	s_add_u32 s20, s20, 8
	v_add3_u32 v2, v7, v2, v6
	s_addc_u32 s21, s21, 0
	s_cbranch_vccnz .LBB0_9
; %bb.7:                                ;   in Loop: Header=BB0_2 Depth=1
	v_mov_b32_e32 v5, v23
	v_mov_b32_e32 v6, v24
	s_branch .LBB0_2
.LBB0_8:
	v_mov_b32_e32 v21, v2
	v_mov_b32_e32 v24, v6
	;; [unrolled: 1-line block ×4, first 2 shown]
.LBB0_9:
	s_load_dwordx2 s[2:3], s[4:5], 0x28
	s_lshl_b64 s[6:7], s[14:15], 3
	s_add_u32 s4, s18, s6
	s_addc_u32 s5, s19, s7
                                        ; implicit-def: $vgpr22
	s_waitcnt lgkmcnt(0)
	v_cmp_gt_u64_e64 s[0:1], s[2:3], v[23:24]
	v_cmp_le_u64_e32 vcc, s[2:3], v[23:24]
	s_and_saveexec_b64 s[2:3], vcc
	s_xor_b64 s[2:3], exec, s[2:3]
; %bb.10:
	s_mov_b32 s14, 0x11bb4a5
	v_mul_hi_u32 v1, v0, s14
	v_mul_u32_u24_e32 v1, 0xe7, v1
	v_sub_u32_e32 v22, v0, v1
                                        ; implicit-def: $vgpr0
                                        ; implicit-def: $vgpr1_vgpr2
; %bb.11:
	s_or_saveexec_b64 s[2:3], s[2:3]
	s_load_dwordx2 s[4:5], s[4:5], 0x0
                                        ; implicit-def: $vgpr3
                                        ; implicit-def: $vgpr17
                                        ; implicit-def: $vgpr19
                                        ; implicit-def: $vgpr7
                                        ; implicit-def: $vgpr5
                                        ; implicit-def: $vgpr15
                                        ; implicit-def: $vgpr13
                                        ; implicit-def: $vgpr11
                                        ; implicit-def: $vgpr9
	s_xor_b64 exec, exec, s[2:3]
	s_cbranch_execz .LBB0_15
; %bb.12:
	s_add_u32 s6, s16, s6
	s_addc_u32 s7, s17, s7
	s_load_dwordx2 s[6:7], s[6:7], 0x0
	s_mov_b32 s14, 0x11bb4a5
	v_mul_hi_u32 v5, v0, s14
                                        ; implicit-def: $vgpr12
	s_waitcnt lgkmcnt(0)
	v_mul_lo_u32 v6, s7, v23
	v_mul_lo_u32 v7, s6, v24
	v_mad_u64_u32 v[3:4], s[6:7], s6, v23, 0
	v_mul_u32_u24_e32 v5, 0xe7, v5
	v_sub_u32_e32 v22, v0, v5
	v_add3_u32 v4, v4, v7, v6
	v_lshlrev_b64 v[3:4], 3, v[3:4]
	v_mov_b32_e32 v0, s9
	v_add_co_u32_e32 v3, vcc, s8, v3
	v_addc_co_u32_e32 v4, vcc, v0, v4, vcc
	v_lshlrev_b64 v[0:1], 3, v[1:2]
	v_lshlrev_b32_e32 v2, 3, v22
	v_add_co_u32_e32 v0, vcc, v3, v0
	v_addc_co_u32_e32 v1, vcc, v4, v1, vcc
	v_add_co_u32_e32 v0, vcc, v0, v2
	v_addc_co_u32_e32 v1, vcc, 0, v1, vcc
	s_movk_i32 s6, 0x1000
	v_add_co_u32_e32 v8, vcc, s6, v0
	v_addc_co_u32_e32 v9, vcc, 0, v1, vcc
	v_add_co_u32_e32 v10, vcc, 0x2000, v0
	global_load_dwordx2 v[2:3], v[0:1], off
	v_addc_co_u32_e32 v11, vcc, 0, v1, vcc
	global_load_dwordx2 v[4:5], v[8:9], off offset:2064
	global_load_dwordx2 v[16:17], v[8:9], off offset:216
	;; [unrolled: 1-line block ×5, first 2 shown]
	s_movk_i32 s6, 0x4d
	v_cmp_gt_u32_e32 vcc, s6, v22
                                        ; implicit-def: $vgpr8
                                        ; implicit-def: $vgpr10
	s_and_saveexec_b64 s[6:7], vcc
	s_cbranch_execz .LBB0_14
; %bb.13:
	v_add_co_u32_e32 v25, vcc, 0x1000, v0
	v_addc_co_u32_e32 v26, vcc, 0, v1, vcc
	v_add_co_u32_e32 v27, vcc, 0x3000, v0
	v_addc_co_u32_e32 v28, vcc, 0, v1, vcc
	global_load_dwordx2 v[8:9], v[0:1], off offset:3696
	global_load_dwordx2 v[10:11], v[25:26], off offset:3912
	;; [unrolled: 1-line block ×3, first 2 shown]
.LBB0_14:
	s_or_b64 exec, exec, s[6:7]
.LBB0_15:
	s_or_b64 exec, exec, s[2:3]
	s_waitcnt vmcnt(3)
	v_add_f32_e32 v1, v2, v16
	s_waitcnt vmcnt(1)
	v_add_f32_e32 v26, v1, v18
	v_add_f32_e32 v1, v3, v17
	;; [unrolled: 1-line block ×4, first 2 shown]
	v_fmac_f32_e32 v3, -0.5, v1
	v_add_f32_e32 v0, v16, v18
	v_sub_f32_e32 v16, v16, v18
	v_mov_b32_e32 v1, v3
	v_fmac_f32_e32 v1, 0x3f5db3d7, v16
	v_fmac_f32_e32 v3, 0xbf5db3d7, v16
	s_waitcnt vmcnt(0)
	v_add_f32_e32 v16, v4, v14
	v_sub_f32_e32 v25, v17, v19
	v_add_f32_e32 v17, v6, v4
	v_fmac_f32_e32 v6, -0.5, v16
	v_sub_f32_e32 v18, v5, v15
	v_mov_b32_e32 v16, v6
	v_fmac_f32_e32 v16, 0xbf5db3d7, v18
	v_fmac_f32_e32 v6, 0x3f5db3d7, v18
	v_add_f32_e32 v18, v17, v14
	v_add_f32_e32 v17, v7, v5
	;; [unrolled: 1-line block ×3, first 2 shown]
	v_fmac_f32_e32 v7, -0.5, v5
	v_fmac_f32_e32 v2, -0.5, v0
	v_add_f32_e32 v19, v17, v15
	v_sub_f32_e32 v4, v4, v14
	v_mov_b32_e32 v17, v7
	v_mov_b32_e32 v0, v2
	v_fmac_f32_e32 v17, 0x3f5db3d7, v4
	v_fmac_f32_e32 v7, 0xbf5db3d7, v4
	v_add_f32_e32 v4, v12, v10
	v_fmac_f32_e32 v0, 0xbf5db3d7, v25
	v_fmac_f32_e32 v2, 0x3f5db3d7, v25
	v_mad_u32_u24 v25, v22, 24, 0
	v_fma_f32 v4, -0.5, v4, v8
	ds_write2_b64 v25, v[26:27], v[0:1] offset1:1
	v_sub_f32_e32 v0, v11, v13
	ds_write_b64 v25, v[2:3] offset:16
	v_mov_b32_e32 v2, v4
	v_fmac_f32_e32 v2, 0xbf5db3d7, v0
	v_fmac_f32_e32 v4, 0x3f5db3d7, v0
	v_add_f32_e32 v0, v13, v11
	v_fma_f32 v5, -0.5, v0, v9
	v_sub_f32_e32 v0, v10, v12
	v_mov_b32_e32 v3, v5
	s_movk_i32 s2, 0x4d
	v_fmac_f32_e32 v3, 0x3f5db3d7, v0
	v_fmac_f32_e32 v5, 0xbf5db3d7, v0
	v_add_u32_e32 v0, 0x15a8, v25
	v_cmp_gt_u32_e32 vcc, s2, v22
	ds_write2_b64 v0, v[18:19], v[16:17] offset1:1
	ds_write_b64 v25, v[6:7] offset:5560
	s_and_saveexec_b64 s[2:3], vcc
	s_cbranch_execz .LBB0_17
; %bb.16:
	v_add_f32_e32 v0, v11, v9
	v_add_f32_e32 v1, v13, v0
	;; [unrolled: 1-line block ×4, first 2 shown]
	v_add_u32_e32 v6, 0x2b50, v25
	ds_write2_b64 v6, v[0:1], v[2:3] offset1:1
	ds_write_b64 v25, v[4:5] offset:11104
.LBB0_17:
	s_or_b64 exec, exec, s[2:3]
	s_movk_i32 s2, 0xab
	v_mul_lo_u16_sdwa v0, v22, s2 dst_sel:DWORD dst_unused:UNUSED_PAD src0_sel:BYTE_0 src1_sel:DWORD
	v_lshrrev_b16_e32 v19, 9, v0
	v_mul_lo_u16_e32 v0, 3, v19
	v_sub_u16_e32 v38, v22, v0
	v_mov_b32_e32 v39, 6
	v_mul_u32_u24_sdwa v0, v38, v39 dst_sel:DWORD dst_unused:UNUSED_PAD src0_sel:BYTE_0 src1_sel:DWORD
	v_lshlrev_b32_e32 v0, 3, v0
	s_waitcnt lgkmcnt(0)
	s_barrier
	global_load_dwordx4 v[7:10], v0, s[12:13] offset:32
	global_load_dwordx4 v[11:14], v0, s[12:13] offset:16
	global_load_dwordx4 v[15:18], v0, s[12:13]
	v_lshlrev_b32_e32 v6, 4, v22
	v_sub_u32_e32 v41, v25, v6
	ds_read_b64 v[0:1], v41 offset:11088
	v_add_u32_e32 v42, 0x1c80, v41
	v_add_u32_e32 v43, 0xe00, v41
	ds_read2_b64 v[26:29], v41 offset1:231
	ds_read2_b64 v[30:33], v42 offset0:12 offset1:243
	ds_read2_b64 v[34:37], v43 offset0:14 offset1:245
	v_mov_b32_e32 v40, 3
	v_mul_u32_u24_e32 v19, 0xa8, v19
	v_lshlrev_b32_sdwa v38, v40, v38 dst_sel:DWORD dst_unused:UNUSED_PAD src0_sel:DWORD src1_sel:BYTE_0
	v_add3_u32 v19, 0, v19, v38
	s_mov_b32 s3, 0xbf5ff5aa
	s_mov_b32 s2, 0xbf3bfb3b
	;; [unrolled: 1-line block ×3, first 2 shown]
	s_waitcnt vmcnt(0) lgkmcnt(0)
	s_barrier
	s_mov_b32 s7, 0x3f3bfb3b
	s_movk_i32 s8, 0x87
	v_mul_f32_e32 v38, v10, v1
	v_mul_f32_e32 v10, v10, v0
	v_mul_f32_e32 v44, v8, v33
	v_mul_f32_e32 v8, v8, v32
	v_mul_f32_e32 v47, v18, v35
	v_mul_f32_e32 v18, v18, v34
	v_mul_f32_e32 v48, v16, v29
	v_mul_f32_e32 v16, v16, v28
	v_mul_f32_e32 v45, v14, v31
	v_mul_f32_e32 v14, v14, v30
	v_mul_f32_e32 v46, v12, v37
	v_mul_f32_e32 v12, v12, v36
	v_fmac_f32_e32 v38, v9, v0
	v_fma_f32 v0, v9, v1, -v10
	v_fmac_f32_e32 v44, v7, v32
	v_fma_f32 v1, v7, v33, -v8
	;; [unrolled: 2-line block ×6, first 2 shown]
	v_add_f32_e32 v11, v48, v38
	v_add_f32_e32 v12, v47, v44
	;; [unrolled: 1-line block ×6, first 2 shown]
	v_sub_f32_e32 v0, v10, v0
	v_sub_f32_e32 v1, v9, v1
	v_sub_f32_e32 v7, v7, v8
	v_add_f32_e32 v8, v12, v11
	v_add_f32_e32 v18, v15, v14
	v_sub_f32_e32 v10, v47, v44
	v_sub_f32_e32 v9, v45, v46
	v_add_f32_e32 v32, v7, v1
	v_sub_f32_e32 v33, v7, v1
	v_sub_f32_e32 v34, v0, v7
	v_add_f32_e32 v7, v13, v8
	v_add_f32_e32 v8, v16, v18
	v_sub_f32_e32 v17, v48, v38
	v_sub_f32_e32 v28, v12, v11
	;; [unrolled: 1-line block ×6, first 2 shown]
	v_add_f32_e32 v30, v9, v10
	v_sub_f32_e32 v31, v9, v10
	v_sub_f32_e32 v35, v1, v0
	v_add_f32_e32 v16, v32, v0
	v_add_f32_e32 v0, v7, v26
	;; [unrolled: 1-line block ×3, first 2 shown]
	v_sub_f32_e32 v12, v13, v12
	v_sub_f32_e32 v9, v17, v9
	;; [unrolled: 1-line block ×3, first 2 shown]
	v_add_f32_e32 v13, v30, v17
	v_mul_f32_e32 v11, 0x3f4a47b2, v11
	v_mul_f32_e32 v14, 0x3f4a47b2, v14
	;; [unrolled: 1-line block ×4, first 2 shown]
	v_mov_b32_e32 v27, v0
	v_mov_b32_e32 v30, v1
	v_fma_f32 v26, v28, s2, -v11
	v_fmac_f32_e32 v27, 0xbf955555, v7
	v_fmac_f32_e32 v30, 0xbf955555, v8
	;; [unrolled: 1-line block ×3, first 2 shown]
	v_fma_f32 v31, v29, s2, -v14
	v_fmac_f32_e32 v14, 0x3d64c772, v15
	v_fma_f32 v32, v10, s3, -v17
	v_fmac_f32_e32 v17, 0xbeae86e6, v9
	;; [unrolled: 2-line block ×3, first 2 shown]
	v_add_f32_e32 v36, v11, v27
	v_add_f32_e32 v14, v14, v30
	v_fmac_f32_e32 v17, 0xbee1c552, v13
	v_fmac_f32_e32 v18, 0xbee1c552, v16
	v_add_f32_e32 v7, v18, v36
	v_sub_f32_e32 v8, v14, v17
	v_mul_f32_e32 v10, 0xbf5ff5aa, v10
	ds_write2_b64 v19, v[0:1], v[7:8] offset1:3
	v_mul_f32_e32 v0, 0x3d64c772, v12
	v_mul_f32_e32 v1, 0x3d64c772, v15
	v_fma_f32 v12, v9, s6, -v10
	v_mul_f32_e32 v9, 0xbf5ff5aa, v35
	v_fma_f32 v0, v28, s7, -v0
	v_fma_f32 v1, v29, s7, -v1
	v_fma_f32 v11, v34, s6, -v9
	v_add_f32_e32 v7, v0, v27
	v_add_f32_e32 v8, v1, v30
	v_fmac_f32_e32 v32, 0xbee1c552, v13
	v_fmac_f32_e32 v33, 0xbee1c552, v16
	v_add_f32_e32 v15, v26, v27
	v_add_f32_e32 v26, v31, v30
	v_fmac_f32_e32 v12, 0xbee1c552, v13
	v_fmac_f32_e32 v11, 0xbee1c552, v16
	v_sub_f32_e32 v0, v7, v33
	v_add_f32_e32 v1, v32, v8
	v_add_f32_e32 v9, v11, v15
	v_sub_f32_e32 v10, v26, v12
	v_add_f32_e32 v7, v33, v7
	v_sub_f32_e32 v8, v8, v32
	v_sub_f32_e32 v11, v15, v11
	v_add_f32_e32 v12, v12, v26
	v_sub_f32_e32 v13, v36, v18
	v_add_f32_e32 v14, v17, v14
	ds_write2_b64 v19, v[9:10], v[0:1] offset0:6 offset1:9
	ds_write2_b64 v19, v[7:8], v[11:12] offset0:12 offset1:15
	ds_write_b64 v19, v[13:14] offset:144
	v_mul_lo_u16_sdwa v0, v22, s8 dst_sel:DWORD dst_unused:UNUSED_PAD src0_sel:BYTE_0 src1_sel:DWORD
	v_sub_u16_sdwa v1, v22, v0 dst_sel:DWORD dst_unused:UNUSED_PAD src0_sel:DWORD src1_sel:BYTE_1
	v_lshrrev_b16_e32 v1, 1, v1
	v_and_b32_e32 v1, 0x7f, v1
	v_add_u16_sdwa v0, v1, v0 dst_sel:DWORD dst_unused:UNUSED_PAD src0_sel:DWORD src1_sel:BYTE_1
	v_lshrrev_b16_e32 v0, 4, v0
	v_and_b32_e32 v34, 15, v0
	v_mul_lo_u16_e32 v0, 21, v34
	v_sub_u16_e32 v35, v22, v0
	v_mul_u32_u24_sdwa v0, v35, v39 dst_sel:DWORD dst_unused:UNUSED_PAD src0_sel:BYTE_0 src1_sel:DWORD
	v_lshlrev_b32_e32 v0, 3, v0
	s_waitcnt lgkmcnt(0)
	s_barrier
	global_load_dwordx4 v[7:10], v0, s[12:13] offset:176
	global_load_dwordx4 v[11:14], v0, s[12:13] offset:160
	;; [unrolled: 1-line block ×3, first 2 shown]
	ds_read_b64 v[0:1], v41 offset:11088
	ds_read2_b64 v[26:29], v42 offset0:12 offset1:243
	ds_read2_b64 v[30:33], v43 offset0:14 offset1:245
	s_waitcnt vmcnt(2) lgkmcnt(2)
	v_mul_f32_e32 v19, v10, v1
	v_mul_f32_e32 v10, v10, v0
	s_waitcnt lgkmcnt(1)
	v_mul_f32_e32 v36, v8, v29
	v_mul_f32_e32 v8, v8, v28
	s_waitcnt vmcnt(1) lgkmcnt(0)
	v_mul_f32_e32 v38, v12, v33
	v_mul_f32_e32 v12, v12, v32
	v_fmac_f32_e32 v19, v9, v0
	v_fma_f32 v0, v9, v1, -v10
	v_fma_f32 v1, v7, v29, -v8
	v_fmac_f32_e32 v38, v11, v32
	v_fma_f32 v12, v11, v33, -v12
	ds_read2_b64 v[8:11], v41 offset1:231
	v_mul_f32_e32 v37, v14, v27
	v_mul_f32_e32 v14, v14, v26
	v_fmac_f32_e32 v36, v7, v28
	v_fmac_f32_e32 v37, v13, v26
	v_fma_f32 v7, v13, v27, -v14
	s_waitcnt vmcnt(0)
	v_mul_f32_e32 v13, v18, v31
	v_mul_f32_e32 v14, v18, v30
	v_fmac_f32_e32 v13, v17, v30
	v_fma_f32 v14, v17, v31, -v14
	s_waitcnt lgkmcnt(0)
	v_mul_f32_e32 v17, v16, v11
	v_fmac_f32_e32 v17, v15, v10
	v_mul_f32_e32 v10, v16, v10
	v_fma_f32 v10, v15, v11, -v10
	v_add_f32_e32 v11, v17, v19
	v_add_f32_e32 v15, v13, v36
	;; [unrolled: 1-line block ×10, first 2 shown]
	v_sub_f32_e32 v1, v14, v1
	v_sub_f32_e32 v7, v7, v12
	v_add_f32_e32 v29, v28, v29
	v_sub_f32_e32 v17, v17, v19
	v_sub_f32_e32 v0, v10, v0
	v_mov_b32_e32 v31, v8
	v_sub_f32_e32 v19, v7, v1
	v_add_f32_e32 v9, v29, v9
	v_sub_f32_e32 v30, v37, v38
	v_fmac_f32_e32 v31, 0xbf955555, v18
	v_sub_f32_e32 v14, v15, v11
	v_add_f32_e32 v18, v7, v1
	v_sub_f32_e32 v1, v1, v0
	v_mul_f32_e32 v38, 0x3f08b237, v19
	v_sub_f32_e32 v11, v11, v16
	v_sub_f32_e32 v10, v13, v36
	v_mov_b32_e32 v32, v9
	v_add_f32_e32 v36, v18, v0
	v_fma_f32 v41, v1, s3, -v38
	v_sub_f32_e32 v0, v0, v7
	v_mul_f32_e32 v7, 0x3f4a47b2, v11
	v_mul_f32_e32 v1, 0xbf5ff5aa, v1
	v_fmac_f32_e32 v32, 0xbf955555, v29
	v_sub_f32_e32 v29, v16, v15
	v_add_f32_e32 v12, v30, v10
	v_fma_f32 v11, v14, s2, -v7
	v_fma_f32 v1, v0, s6, -v1
	v_sub_f32_e32 v13, v30, v10
	v_add_f32_e32 v33, v12, v17
	v_mul_f32_e32 v12, 0x3d64c772, v29
	v_add_f32_e32 v11, v11, v31
	v_fmac_f32_e32 v1, 0xbee1c552, v36
	v_sub_f32_e32 v15, v27, v26
	v_sub_f32_e32 v27, v28, v27
	;; [unrolled: 1-line block ×3, first 2 shown]
	v_mul_f32_e32 v37, 0x3f08b237, v13
	v_fma_f32 v12, v14, s7, -v12
	v_add_f32_e32 v16, v1, v11
	v_sub_f32_e32 v14, v11, v1
	v_sub_f32_e32 v1, v26, v28
	v_mul_f32_e32 v13, 0x3d64c772, v27
	v_fma_f32 v39, v10, s3, -v37
	v_sub_f32_e32 v11, v17, v30
	v_mul_f32_e32 v1, 0x3f4a47b2, v1
	v_mul_f32_e32 v10, 0xbf5ff5aa, v10
	v_fma_f32 v13, v15, s7, -v13
	v_fma_f32 v15, v15, s2, -v1
	;; [unrolled: 1-line block ×3, first 2 shown]
	v_fmac_f32_e32 v7, 0x3d64c772, v29
	v_fmac_f32_e32 v38, 0xbeae86e6, v0
	;; [unrolled: 1-line block ×4, first 2 shown]
	s_movk_i32 s2, 0x498
	v_add_f32_e32 v12, v12, v31
	v_add_f32_e32 v13, v13, v32
	v_fmac_f32_e32 v39, 0xbee1c552, v33
	v_fmac_f32_e32 v41, 0xbee1c552, v36
	v_add_f32_e32 v15, v15, v32
	v_fmac_f32_e32 v10, 0xbee1c552, v33
	v_add_f32_e32 v0, v7, v31
	;; [unrolled: 2-line block ×3, first 2 shown]
	v_fmac_f32_e32 v37, 0xbee1c552, v33
	v_mul_u32_u24_sdwa v7, v34, s2 dst_sel:DWORD dst_unused:UNUSED_PAD src0_sel:WORD_0 src1_sel:DWORD
	v_lshlrev_b32_sdwa v26, v40, v35 dst_sel:DWORD dst_unused:UNUSED_PAD src0_sel:DWORD src1_sel:BYTE_0
	s_movk_i32 s6, 0x93
	v_sub_f32_e32 v18, v12, v41
	v_add_f32_e32 v19, v39, v13
	v_add_f32_e32 v12, v41, v12
	v_sub_f32_e32 v13, v13, v39
	v_sub_f32_e32 v17, v15, v10
	v_add_f32_e32 v15, v10, v15
	v_add_f32_e32 v10, v38, v0
	v_sub_f32_e32 v0, v0, v38
	v_sub_f32_e32 v11, v1, v37
	v_add_f32_e32 v1, v37, v1
	v_add3_u32 v7, 0, v7, v26
	v_cmp_gt_u32_e32 vcc, s6, v22
	s_barrier
	ds_write2_b64 v7, v[8:9], v[10:11] offset1:21
	ds_write2_b64 v7, v[16:17], v[18:19] offset0:42 offset1:63
	ds_write2_b64 v7, v[12:13], v[14:15] offset0:84 offset1:105
	ds_write_b64 v7, v[0:1] offset:1008
	s_waitcnt lgkmcnt(0)
	s_barrier
	s_waitcnt lgkmcnt(0)
                                        ; implicit-def: $vgpr28
	s_and_saveexec_b64 s[2:3], vcc
	s_cbranch_execz .LBB0_19
; %bb.18:
	v_sub_u32_e32 v0, 0, v6
	v_add_u32_e32 v25, v25, v0
	v_add_u32_e32 v0, 0x800, v25
	ds_read2_b64 v[16:19], v0 offset0:38 offset1:185
	v_add_u32_e32 v0, 0x1000, v25
	ds_read2_b64 v[12:15], v0 offset0:76 offset1:223
	v_add_u32_e32 v0, 0x1a00, v25
	v_add_u32_e32 v4, 0x2400, v25
	ds_read2_b64 v[8:11], v25 offset1:147
	ds_read2_b64 v[0:3], v0 offset0:50 offset1:197
	ds_read2_b64 v[4:7], v4 offset0:24 offset1:171
	ds_read_b64 v[27:28], v25 offset:11760
.LBB0_19:
	s_or_b64 exec, exec, s[2:3]
	v_cmp_gt_u32_e64 s[2:3], s6, v22
	s_and_b64 s[0:1], s[0:1], s[2:3]
	s_and_saveexec_b64 s[2:3], s[0:1]
	s_cbranch_execz .LBB0_21
; %bb.20:
	v_add_u32_e32 v25, 0xffffff6d, v22
	v_cndmask_b32_e32 v25, v25, v22, vcc
	v_mul_i32_i24_e32 v25, 10, v25
	v_mov_b32_e32 v26, 0
	v_lshlrev_b64 v[29:30], 3, v[25:26]
	v_mov_b32_e32 v25, s13
	v_add_co_u32_e32 v49, vcc, s12, v29
	v_addc_co_u32_e32 v50, vcc, v25, v30, vcc
	global_load_dwordx4 v[29:32], v[49:50], off offset:1152
	global_load_dwordx4 v[33:36], v[49:50], off offset:1216
	;; [unrolled: 1-line block ×5, first 2 shown]
	v_mul_lo_u32 v49, s5, v23
	v_mul_lo_u32 v50, s4, v24
	v_mad_u64_u32 v[24:25], s[0:1], s4, v23, 0
	s_mov_b32 s0, 0xbf75a155
	s_mov_b32 s1, 0x3f575c64
	v_add3_u32 v25, v25, v50, v49
	s_mov_b32 s2, 0xbf27a4f4
	s_mov_b32 s3, 0x3ed4b147
	;; [unrolled: 1-line block ×3, first 2 shown]
	v_lshlrev_b64 v[24:25], 3, v[24:25]
	v_lshlrev_b64 v[20:21], 3, v[20:21]
	v_add_co_u32_e32 v24, vcc, s10, v24
	s_waitcnt vmcnt(4) lgkmcnt(3)
	v_mul_f32_e32 v23, v10, v30
	v_mul_f32_e32 v49, v16, v32
	;; [unrolled: 1-line block ×3, first 2 shown]
	s_waitcnt vmcnt(3) lgkmcnt(0)
	v_mul_f32_e32 v50, v27, v36
	v_mul_f32_e32 v30, v11, v30
	;; [unrolled: 1-line block ×4, first 2 shown]
	s_waitcnt vmcnt(0)
	v_mul_f32_e32 v57, v14, v46
	v_mul_f32_e32 v46, v15, v46
	v_fma_f32 v23, v11, v29, -v23
	v_fmac_f32_e32 v32, v16, v31
	v_fma_f32 v16, v28, v35, -v50
	v_mul_f32_e32 v52, v18, v38
	v_mul_f32_e32 v38, v19, v38
	v_fmac_f32_e32 v30, v10, v29
	v_fma_f32 v17, v17, v31, -v49
	v_fmac_f32_e32 v36, v27, v35
	v_fma_f32 v27, v7, v33, -v51
	v_fmac_f32_e32 v46, v14, v45
	v_add_f32_e32 v10, v16, v23
	v_sub_f32_e32 v14, v23, v16
	v_mul_f32_e32 v34, v7, v34
	v_mul_f32_e32 v53, v4, v44
	;; [unrolled: 1-line block ×6, first 2 shown]
	v_fma_f32 v19, v19, v37, -v52
	v_fmac_f32_e32 v38, v18, v37
	v_add_f32_e32 v11, v27, v17
	v_sub_f32_e32 v37, v17, v27
	v_mul_f32_e32 v49, 0xbf75a155, v10
	v_mul_f32_e32 v51, 0xbe903f40, v14
	;; [unrolled: 1-line block ×4, first 2 shown]
	v_fmac_f32_e32 v34, v6, v33
	v_fma_f32 v18, v5, v43, -v53
	v_fmac_f32_e32 v42, v2, v41
	v_fmac_f32_e32 v48, v0, v47
	v_sub_f32_e32 v29, v30, v36
	v_add_f32_e32 v33, v36, v30
	v_mul_f32_e32 v50, 0x3f575c64, v11
	v_mul_f32_e32 v52, 0x3f0a6770, v37
	v_mov_b32_e32 v0, v49
	v_mov_b32_e32 v2, v51
	v_mul_f32_e32 v44, v5, v44
	v_fmac_f32_e32 v40, v12, v39
	v_fma_f32 v12, v3, v41, -v55
	v_fma_f32 v28, v1, v47, -v56
	v_sub_f32_e32 v31, v32, v34
	v_add_f32_e32 v35, v34, v32
	v_mov_b32_e32 v1, v50
	v_mov_b32_e32 v3, v52
	v_fmac_f32_e32 v0, 0x3e903f40, v29
	v_fmac_f32_e32 v2, 0xbf75a155, v33
	v_sub_f32_e32 v55, v19, v18
	v_fmac_f32_e32 v44, v4, v43
	v_fma_f32 v13, v13, v39, -v54
	v_fmac_f32_e32 v1, 0xbf0a6770, v31
	v_fmac_f32_e32 v3, 0x3f575c64, v35
	v_add_f32_e32 v0, v9, v0
	v_add_f32_e32 v2, v8, v2
	v_mul_f32_e32 v56, 0xbf4178ce, v55
	v_add_f32_e32 v39, v18, v19
	v_add_f32_e32 v47, v44, v38
	;; [unrolled: 1-line block ×4, first 2 shown]
	v_mov_b32_e32 v2, v56
	v_sub_f32_e32 v58, v13, v12
	v_fma_f32 v15, v15, v45, -v57
	v_add_f32_e32 v43, v12, v13
	v_mul_f32_e32 v53, 0xbf27a4f4, v39
	v_fmac_f32_e32 v2, 0xbf27a4f4, v47
	v_mul_f32_e32 v59, 0x3f68dda4, v58
	v_sub_f32_e32 v41, v38, v44
	v_mul_f32_e32 v54, 0x3ed4b147, v43
	v_mov_b32_e32 v4, v53
	v_add_f32_e32 v1, v1, v2
	v_add_f32_e32 v57, v42, v40
	v_mov_b32_e32 v2, v59
	v_add_f32_e32 v60, v28, v15
	v_sub_f32_e32 v45, v40, v42
	v_mov_b32_e32 v5, v54
	v_fmac_f32_e32 v4, 0x3f4178ce, v41
	v_fmac_f32_e32 v2, 0x3ed4b147, v57
	v_mul_f32_e32 v61, 0xbe11bafb, v60
	v_fmac_f32_e32 v5, 0xbf68dda4, v45
	v_add_f32_e32 v0, v0, v4
	v_add_f32_e32 v2, v1, v2
	v_sub_f32_e32 v62, v46, v48
	v_mov_b32_e32 v1, v61
	v_sub_f32_e32 v64, v15, v28
	v_add_f32_e32 v0, v0, v5
	v_fmac_f32_e32 v1, 0x3f7d64f0, v62
	v_mul_f32_e32 v65, 0xbf7d64f0, v64
	v_add_f32_e32 v1, v0, v1
	v_add_f32_e32 v63, v48, v46
	v_mov_b32_e32 v0, v65
	v_fmac_f32_e32 v0, 0xbe11bafb, v63
	v_mul_f32_e32 v66, 0xbf27a4f4, v10
	v_add_f32_e32 v0, v2, v0
	v_mov_b32_e32 v2, v66
	v_mul_f32_e32 v67, 0xbe11bafb, v11
	v_fmac_f32_e32 v2, 0x3f4178ce, v29
	v_mov_b32_e32 v3, v67
	v_add_f32_e32 v2, v9, v2
	v_fmac_f32_e32 v3, 0xbf7d64f0, v31
	v_mul_f32_e32 v68, 0x3f575c64, v39
	v_add_f32_e32 v2, v2, v3
	v_mov_b32_e32 v3, v68
	v_fmac_f32_e32 v3, 0x3f0a6770, v41
	v_mul_f32_e32 v69, 0xbf75a155, v43
	v_add_f32_e32 v2, v2, v3
	v_mov_b32_e32 v3, v69
	;; [unrolled: 4-line block ×3, first 2 shown]
	v_mul_f32_e32 v71, 0x3f7d64f0, v37
	v_fmac_f32_e32 v3, 0xbf27a4f4, v33
	v_mov_b32_e32 v4, v71
	v_add_f32_e32 v3, v8, v3
	v_fmac_f32_e32 v4, 0xbe11bafb, v35
	v_mul_f32_e32 v72, 0xbf0a6770, v55
	v_add_f32_e32 v3, v3, v4
	v_mov_b32_e32 v4, v72
	v_fmac_f32_e32 v4, 0x3f575c64, v47
	v_mul_f32_e32 v73, 0xbe903f40, v58
	v_add_f32_e32 v3, v3, v4
	v_mov_b32_e32 v4, v73
	;; [unrolled: 4-line block ×5, first 2 shown]
	v_mul_f32_e32 v77, 0xbf75a155, v11
	v_fmac_f32_e32 v4, 0x3f7d64f0, v29
	v_mov_b32_e32 v5, v77
	v_add_f32_e32 v4, v9, v4
	v_fmac_f32_e32 v5, 0xbe903f40, v31
	v_mul_f32_e32 v78, 0x3ed4b147, v39
	v_add_f32_e32 v4, v4, v5
	v_mov_b32_e32 v5, v78
	v_fmac_f32_e32 v5, 0xbf68dda4, v41
	v_mul_f32_e32 v79, 0x3f575c64, v43
	v_add_f32_e32 v4, v4, v5
	v_mov_b32_e32 v5, v79
	;; [unrolled: 4-line block ×3, first 2 shown]
	v_mul_f32_e32 v81, 0x3e903f40, v37
	v_fmac_f32_e32 v5, 0xbe11bafb, v33
	v_mov_b32_e32 v6, v81
	v_add_f32_e32 v5, v8, v5
	v_fmac_f32_e32 v6, 0xbf75a155, v35
	v_mul_f32_e32 v82, 0x3f68dda4, v55
	v_add_f32_e32 v5, v5, v6
	v_mov_b32_e32 v6, v82
	v_fmac_f32_e32 v6, 0x3ed4b147, v47
	v_mul_f32_e32 v83, 0xbf0a6770, v58
	v_add_f32_e32 v5, v5, v6
	v_mov_b32_e32 v6, v83
	;; [unrolled: 4-line block ×5, first 2 shown]
	v_mul_f32_e32 v87, 0xbf27a4f4, v11
	v_fmac_f32_e32 v6, 0x3f68dda4, v29
	v_mov_b32_e32 v7, v87
	v_add_f32_e32 v6, v9, v6
	v_fmac_f32_e32 v7, 0x3f4178ce, v31
	v_mul_f32_e32 v88, 0xbf75a155, v39
	v_add_f32_e32 v6, v6, v7
	v_mov_b32_e32 v7, v88
	v_fmac_f32_e32 v7, 0xbe903f40, v41
	v_mul_f32_e32 v89, 0xbe11bafb, v43
	v_add_f32_e32 v6, v6, v7
	v_mov_b32_e32 v7, v89
	;; [unrolled: 4-line block ×3, first 2 shown]
	v_mul_f32_e32 v91, 0xbf4178ce, v37
	v_fmac_f32_e32 v7, 0x3ed4b147, v33
	v_mov_b32_e32 v92, v91
	v_add_f32_e32 v7, v8, v7
	v_fmac_f32_e32 v92, 0xbf27a4f4, v35
	v_add_f32_e32 v7, v7, v92
	v_mul_f32_e32 v92, 0x3e903f40, v55
	v_mov_b32_e32 v93, v92
	v_fmac_f32_e32 v93, 0xbf75a155, v47
	v_add_f32_e32 v7, v7, v93
	v_mul_f32_e32 v93, 0x3f7d64f0, v58
	v_mov_b32_e32 v94, v93
	v_fmac_f32_e32 v94, 0xbe11bafb, v57
	v_mul_f32_e32 v95, 0x3f575c64, v60
	v_add_f32_e32 v94, v7, v94
	v_mov_b32_e32 v7, v95
	v_fmac_f32_e32 v7, 0xbf0a6770, v62
	v_mul_f32_e32 v96, 0x3f0a6770, v64
	v_add_f32_e32 v7, v6, v7
	v_mov_b32_e32 v6, v96
	v_fmac_f32_e32 v6, 0x3f575c64, v63
	v_add_f32_e32 v6, v94, v6
	v_mul_f32_e32 v94, 0x3f575c64, v10
	v_mov_b32_e32 v10, v94
	v_mul_f32_e32 v97, 0x3ed4b147, v11
	v_fmac_f32_e32 v10, 0x3f0a6770, v29
	v_mov_b32_e32 v11, v97
	v_add_f32_e32 v10, v9, v10
	v_fmac_f32_e32 v11, 0x3f68dda4, v31
	v_mul_f32_e32 v39, 0xbe11bafb, v39
	v_add_f32_e32 v10, v10, v11
	v_mov_b32_e32 v11, v39
	v_fmac_f32_e32 v11, 0x3f7d64f0, v41
	v_mul_f32_e32 v43, 0xbf27a4f4, v43
	v_add_f32_e32 v10, v10, v11
	v_mov_b32_e32 v11, v43
	;; [unrolled: 4-line block ×3, first 2 shown]
	v_mul_f32_e32 v37, 0xbf68dda4, v37
	v_fmac_f32_e32 v11, 0x3f575c64, v33
	v_mov_b32_e32 v14, v37
	v_add_f32_e32 v11, v8, v11
	v_fmac_f32_e32 v14, 0x3ed4b147, v35
	v_mul_f32_e32 v55, 0xbf7d64f0, v55
	v_add_f32_e32 v11, v11, v14
	v_mov_b32_e32 v14, v55
	v_fmac_f32_e32 v14, 0xbe11bafb, v47
	v_mul_f32_e32 v58, 0xbf4178ce, v58
	v_add_f32_e32 v11, v11, v14
	v_mov_b32_e32 v14, v58
	;; [unrolled: 4-line block ×4, first 2 shown]
	v_fmac_f32_e32 v10, 0xbf75a155, v63
	v_add_f32_e32 v10, v14, v10
	v_add_f32_e32 v14, v9, v23
	;; [unrolled: 1-line block ×19, first 2 shown]
	v_fmac_f32_e32 v49, 0xbe903f40, v29
	v_add_f32_e32 v13, v16, v12
	v_add_f32_e32 v12, v36, v14
	;; [unrolled: 1-line block ×3, first 2 shown]
	v_fmac_f32_e32 v50, 0x3f0a6770, v31
	v_fma_f32 v15, v33, s0, -v51
	v_add_f32_e32 v14, v14, v50
	v_fmac_f32_e32 v53, 0xbf4178ce, v41
	v_add_f32_e32 v15, v8, v15
	v_fma_f32 v16, v35, s1, -v52
	v_add_f32_e32 v14, v14, v53
	v_fmac_f32_e32 v54, 0x3f68dda4, v45
	v_add_f32_e32 v15, v15, v16
	v_fma_f32 v16, v47, s2, -v56
	v_add_f32_e32 v14, v14, v54
	v_add_f32_e32 v15, v15, v16
	v_fma_f32 v16, v57, s3, -v59
	v_fmac_f32_e32 v61, 0xbf7d64f0, v62
	v_add_f32_e32 v16, v15, v16
	v_add_f32_e32 v15, v14, v61
	v_fma_f32 v14, v63, s4, -v65
	v_fmac_f32_e32 v66, 0xbf4178ce, v29
	v_add_f32_e32 v14, v16, v14
	v_add_f32_e32 v16, v9, v66
	v_fmac_f32_e32 v67, 0x3f7d64f0, v31
	v_fma_f32 v17, v33, s2, -v70
	v_add_f32_e32 v16, v16, v67
	v_fmac_f32_e32 v68, 0xbf0a6770, v41
	v_add_f32_e32 v17, v8, v17
	v_fma_f32 v18, v35, s4, -v71
	v_add_f32_e32 v16, v16, v68
	v_fmac_f32_e32 v69, 0xbe903f40, v45
	v_add_f32_e32 v17, v17, v18
	v_fma_f32 v18, v47, s1, -v72
	v_add_f32_e32 v16, v16, v69
	v_add_f32_e32 v17, v17, v18
	v_fma_f32 v18, v57, s0, -v73
	v_fmac_f32_e32 v74, 0x3f68dda4, v62
	v_add_f32_e32 v18, v17, v18
	v_add_f32_e32 v17, v16, v74
	v_fma_f32 v16, v63, s3, -v75
	v_fmac_f32_e32 v76, 0xbf7d64f0, v29
	v_add_f32_e32 v16, v18, v16
	v_add_f32_e32 v18, v9, v76
	;; [unrolled: 20-line block ×3, first 2 shown]
	v_fmac_f32_e32 v87, 0xbf4178ce, v31
	v_fma_f32 v27, v33, s3, -v90
	v_add_f32_e32 v23, v23, v87
	v_fmac_f32_e32 v88, 0x3e903f40, v41
	v_add_f32_e32 v27, v8, v27
	v_fma_f32 v28, v35, s2, -v91
	v_add_f32_e32 v23, v23, v88
	v_fmac_f32_e32 v89, 0x3f7d64f0, v45
	v_add_f32_e32 v27, v27, v28
	v_fma_f32 v28, v47, s0, -v92
	v_add_f32_e32 v23, v23, v89
	v_add_f32_e32 v27, v27, v28
	v_fma_f32 v28, v57, s4, -v93
	v_fmac_f32_e32 v95, 0x3f0a6770, v62
	v_add_f32_e32 v27, v27, v28
	v_add_f32_e32 v28, v23, v95
	v_fma_f32 v23, v63, s1, -v96
	v_add_f32_e32 v27, v27, v23
	v_fma_f32 v23, v33, s1, -v98
	;; [unrolled: 2-line block ×6, first 2 shown]
	v_add_f32_e32 v8, v8, v23
	v_mov_b32_e32 v23, v26
	v_mov_b32_e32 v26, s11
	v_addc_co_u32_e32 v25, vcc, v26, v25, vcc
	v_add_co_u32_e32 v24, vcc, v24, v20
	v_addc_co_u32_e32 v25, vcc, v25, v21, vcc
	v_lshlrev_b64 v[20:21], 3, v[22:23]
	v_fmac_f32_e32 v94, 0xbf0a6770, v29
	v_add_co_u32_e32 v20, vcc, v24, v20
	v_addc_co_u32_e32 v21, vcc, v25, v21, vcc
	s_movk_i32 s0, 0x1000
	v_fmac_f32_e32 v97, 0xbf68dda4, v31
	v_add_f32_e32 v9, v9, v94
	global_store_dwordx2 v[20:21], v[12:13], off
	global_store_dwordx2 v[20:21], v[10:11], off offset:1176
	global_store_dwordx2 v[20:21], v[6:7], off offset:2352
	;; [unrolled: 1-line block ×3, first 2 shown]
	v_add_co_u32_e32 v4, vcc, s0, v20
	v_add_f32_e32 v9, v9, v97
	v_fmac_f32_e32 v39, 0xbf7d64f0, v41
	v_addc_co_u32_e32 v5, vcc, 0, v21, vcc
	v_add_f32_e32 v9, v9, v39
	v_fmac_f32_e32 v43, 0xbf4178ce, v45
	global_store_dwordx2 v[4:5], v[2:3], off offset:608
	global_store_dwordx2 v[4:5], v[0:1], off offset:1784
	;; [unrolled: 1-line block ×3, first 2 shown]
	v_add_co_u32_e32 v0, vcc, 0x2000, v20
	v_add_f32_e32 v9, v9, v43
	v_fmac_f32_e32 v60, 0xbe903f40, v62
	v_addc_co_u32_e32 v1, vcc, 0, v21, vcc
	v_add_f32_e32 v9, v9, v60
	global_store_dwordx2 v[0:1], v[16:17], off offset:40
	global_store_dwordx2 v[0:1], v[18:19], off offset:1216
	;; [unrolled: 1-line block ×4, first 2 shown]
.LBB0_21:
	s_endpgm
	.section	.rodata,"a",@progbits
	.p2align	6, 0x0
	.amdhsa_kernel fft_rtc_back_len1617_factors_3_7_7_11_wgs_231_tpt_231_sp_op_CI_CI_unitstride_sbrr_dirReg
		.amdhsa_group_segment_fixed_size 0
		.amdhsa_private_segment_fixed_size 0
		.amdhsa_kernarg_size 104
		.amdhsa_user_sgpr_count 6
		.amdhsa_user_sgpr_private_segment_buffer 1
		.amdhsa_user_sgpr_dispatch_ptr 0
		.amdhsa_user_sgpr_queue_ptr 0
		.amdhsa_user_sgpr_kernarg_segment_ptr 1
		.amdhsa_user_sgpr_dispatch_id 0
		.amdhsa_user_sgpr_flat_scratch_init 0
		.amdhsa_user_sgpr_private_segment_size 0
		.amdhsa_uses_dynamic_stack 0
		.amdhsa_system_sgpr_private_segment_wavefront_offset 0
		.amdhsa_system_sgpr_workgroup_id_x 1
		.amdhsa_system_sgpr_workgroup_id_y 0
		.amdhsa_system_sgpr_workgroup_id_z 0
		.amdhsa_system_sgpr_workgroup_info 0
		.amdhsa_system_vgpr_workitem_id 0
		.amdhsa_next_free_vgpr 99
		.amdhsa_next_free_sgpr 28
		.amdhsa_reserve_vcc 1
		.amdhsa_reserve_flat_scratch 0
		.amdhsa_float_round_mode_32 0
		.amdhsa_float_round_mode_16_64 0
		.amdhsa_float_denorm_mode_32 3
		.amdhsa_float_denorm_mode_16_64 3
		.amdhsa_dx10_clamp 1
		.amdhsa_ieee_mode 1
		.amdhsa_fp16_overflow 0
		.amdhsa_exception_fp_ieee_invalid_op 0
		.amdhsa_exception_fp_denorm_src 0
		.amdhsa_exception_fp_ieee_div_zero 0
		.amdhsa_exception_fp_ieee_overflow 0
		.amdhsa_exception_fp_ieee_underflow 0
		.amdhsa_exception_fp_ieee_inexact 0
		.amdhsa_exception_int_div_zero 0
	.end_amdhsa_kernel
	.text
.Lfunc_end0:
	.size	fft_rtc_back_len1617_factors_3_7_7_11_wgs_231_tpt_231_sp_op_CI_CI_unitstride_sbrr_dirReg, .Lfunc_end0-fft_rtc_back_len1617_factors_3_7_7_11_wgs_231_tpt_231_sp_op_CI_CI_unitstride_sbrr_dirReg
                                        ; -- End function
	.section	.AMDGPU.csdata,"",@progbits
; Kernel info:
; codeLenInByte = 6000
; NumSgprs: 32
; NumVgprs: 99
; ScratchSize: 0
; MemoryBound: 0
; FloatMode: 240
; IeeeMode: 1
; LDSByteSize: 0 bytes/workgroup (compile time only)
; SGPRBlocks: 3
; VGPRBlocks: 24
; NumSGPRsForWavesPerEU: 32
; NumVGPRsForWavesPerEU: 99
; Occupancy: 2
; WaveLimiterHint : 1
; COMPUTE_PGM_RSRC2:SCRATCH_EN: 0
; COMPUTE_PGM_RSRC2:USER_SGPR: 6
; COMPUTE_PGM_RSRC2:TRAP_HANDLER: 0
; COMPUTE_PGM_RSRC2:TGID_X_EN: 1
; COMPUTE_PGM_RSRC2:TGID_Y_EN: 0
; COMPUTE_PGM_RSRC2:TGID_Z_EN: 0
; COMPUTE_PGM_RSRC2:TIDIG_COMP_CNT: 0
	.type	__hip_cuid_a89dd62c2d692d8b,@object ; @__hip_cuid_a89dd62c2d692d8b
	.section	.bss,"aw",@nobits
	.globl	__hip_cuid_a89dd62c2d692d8b
__hip_cuid_a89dd62c2d692d8b:
	.byte	0                               ; 0x0
	.size	__hip_cuid_a89dd62c2d692d8b, 1

	.ident	"AMD clang version 19.0.0git (https://github.com/RadeonOpenCompute/llvm-project roc-6.4.0 25133 c7fe45cf4b819c5991fe208aaa96edf142730f1d)"
	.section	".note.GNU-stack","",@progbits
	.addrsig
	.addrsig_sym __hip_cuid_a89dd62c2d692d8b
	.amdgpu_metadata
---
amdhsa.kernels:
  - .args:
      - .actual_access:  read_only
        .address_space:  global
        .offset:         0
        .size:           8
        .value_kind:     global_buffer
      - .offset:         8
        .size:           8
        .value_kind:     by_value
      - .actual_access:  read_only
        .address_space:  global
        .offset:         16
        .size:           8
        .value_kind:     global_buffer
      - .actual_access:  read_only
        .address_space:  global
        .offset:         24
        .size:           8
        .value_kind:     global_buffer
      - .actual_access:  read_only
        .address_space:  global
        .offset:         32
        .size:           8
        .value_kind:     global_buffer
      - .offset:         40
        .size:           8
        .value_kind:     by_value
      - .actual_access:  read_only
        .address_space:  global
        .offset:         48
        .size:           8
        .value_kind:     global_buffer
      - .actual_access:  read_only
        .address_space:  global
        .offset:         56
        .size:           8
        .value_kind:     global_buffer
      - .offset:         64
        .size:           4
        .value_kind:     by_value
      - .actual_access:  read_only
        .address_space:  global
        .offset:         72
        .size:           8
        .value_kind:     global_buffer
      - .actual_access:  read_only
        .address_space:  global
        .offset:         80
        .size:           8
        .value_kind:     global_buffer
      - .actual_access:  read_only
        .address_space:  global
        .offset:         88
        .size:           8
        .value_kind:     global_buffer
      - .actual_access:  write_only
        .address_space:  global
        .offset:         96
        .size:           8
        .value_kind:     global_buffer
    .group_segment_fixed_size: 0
    .kernarg_segment_align: 8
    .kernarg_segment_size: 104
    .language:       OpenCL C
    .language_version:
      - 2
      - 0
    .max_flat_workgroup_size: 231
    .name:           fft_rtc_back_len1617_factors_3_7_7_11_wgs_231_tpt_231_sp_op_CI_CI_unitstride_sbrr_dirReg
    .private_segment_fixed_size: 0
    .sgpr_count:     32
    .sgpr_spill_count: 0
    .symbol:         fft_rtc_back_len1617_factors_3_7_7_11_wgs_231_tpt_231_sp_op_CI_CI_unitstride_sbrr_dirReg.kd
    .uniform_work_group_size: 1
    .uses_dynamic_stack: false
    .vgpr_count:     99
    .vgpr_spill_count: 0
    .wavefront_size: 64
amdhsa.target:   amdgcn-amd-amdhsa--gfx906
amdhsa.version:
  - 1
  - 2
...

	.end_amdgpu_metadata
